;; amdgpu-corpus repo=ROCm/rocFFT kind=compiled arch=gfx906 opt=O3
	.text
	.amdgcn_target "amdgcn-amd-amdhsa--gfx906"
	.amdhsa_code_object_version 6
	.protected	fft_rtc_back_len1500_factors_5_10_10_3_wgs_150_tpt_150_halfLds_half_ip_CI_unitstride_sbrr_C2R_dirReg ; -- Begin function fft_rtc_back_len1500_factors_5_10_10_3_wgs_150_tpt_150_halfLds_half_ip_CI_unitstride_sbrr_C2R_dirReg
	.globl	fft_rtc_back_len1500_factors_5_10_10_3_wgs_150_tpt_150_halfLds_half_ip_CI_unitstride_sbrr_C2R_dirReg
	.p2align	8
	.type	fft_rtc_back_len1500_factors_5_10_10_3_wgs_150_tpt_150_halfLds_half_ip_CI_unitstride_sbrr_C2R_dirReg,@function
fft_rtc_back_len1500_factors_5_10_10_3_wgs_150_tpt_150_halfLds_half_ip_CI_unitstride_sbrr_C2R_dirReg: ; @fft_rtc_back_len1500_factors_5_10_10_3_wgs_150_tpt_150_halfLds_half_ip_CI_unitstride_sbrr_C2R_dirReg
; %bb.0:
	s_load_dwordx2 s[12:13], s[4:5], 0x50
	s_load_dwordx4 s[8:11], s[4:5], 0x0
	s_load_dwordx2 s[2:3], s[4:5], 0x18
	v_mul_u32_u24_e32 v1, 0x1b5, v0
	v_add_u32_sdwa v5, s6, v1 dst_sel:DWORD dst_unused:UNUSED_PAD src0_sel:DWORD src1_sel:WORD_1
	v_mov_b32_e32 v3, 0
	s_waitcnt lgkmcnt(0)
	v_cmp_lt_u64_e64 s[0:1], s[10:11], 2
	v_mov_b32_e32 v1, 0
	v_mov_b32_e32 v6, v3
	s_and_b64 vcc, exec, s[0:1]
	v_mov_b32_e32 v2, 0
	s_cbranch_vccnz .LBB0_8
; %bb.1:
	s_load_dwordx2 s[0:1], s[4:5], 0x10
	s_add_u32 s6, s2, 8
	s_addc_u32 s7, s3, 0
	v_mov_b32_e32 v1, 0
	v_mov_b32_e32 v2, 0
	s_waitcnt lgkmcnt(0)
	s_add_u32 s14, s0, 8
	s_addc_u32 s15, s1, 0
	s_mov_b64 s[16:17], 1
.LBB0_2:                                ; =>This Inner Loop Header: Depth=1
	s_load_dwordx2 s[18:19], s[14:15], 0x0
                                        ; implicit-def: $vgpr7_vgpr8
	s_waitcnt lgkmcnt(0)
	v_or_b32_e32 v4, s19, v6
	v_cmp_ne_u64_e32 vcc, 0, v[3:4]
	s_and_saveexec_b64 s[0:1], vcc
	s_xor_b64 s[20:21], exec, s[0:1]
	s_cbranch_execz .LBB0_4
; %bb.3:                                ;   in Loop: Header=BB0_2 Depth=1
	v_cvt_f32_u32_e32 v4, s18
	v_cvt_f32_u32_e32 v7, s19
	s_sub_u32 s0, 0, s18
	s_subb_u32 s1, 0, s19
	v_mac_f32_e32 v4, 0x4f800000, v7
	v_rcp_f32_e32 v4, v4
	v_mul_f32_e32 v4, 0x5f7ffffc, v4
	v_mul_f32_e32 v7, 0x2f800000, v4
	v_trunc_f32_e32 v7, v7
	v_mac_f32_e32 v4, 0xcf800000, v7
	v_cvt_u32_f32_e32 v7, v7
	v_cvt_u32_f32_e32 v4, v4
	v_mul_lo_u32 v8, s0, v7
	v_mul_hi_u32 v9, s0, v4
	v_mul_lo_u32 v11, s1, v4
	v_mul_lo_u32 v10, s0, v4
	v_add_u32_e32 v8, v9, v8
	v_add_u32_e32 v8, v8, v11
	v_mul_hi_u32 v9, v4, v10
	v_mul_lo_u32 v11, v4, v8
	v_mul_hi_u32 v13, v4, v8
	v_mul_hi_u32 v12, v7, v10
	v_mul_lo_u32 v10, v7, v10
	v_mul_hi_u32 v14, v7, v8
	v_add_co_u32_e32 v9, vcc, v9, v11
	v_addc_co_u32_e32 v11, vcc, 0, v13, vcc
	v_mul_lo_u32 v8, v7, v8
	v_add_co_u32_e32 v9, vcc, v9, v10
	v_addc_co_u32_e32 v9, vcc, v11, v12, vcc
	v_addc_co_u32_e32 v10, vcc, 0, v14, vcc
	v_add_co_u32_e32 v8, vcc, v9, v8
	v_addc_co_u32_e32 v9, vcc, 0, v10, vcc
	v_add_co_u32_e32 v4, vcc, v4, v8
	v_addc_co_u32_e32 v7, vcc, v7, v9, vcc
	v_mul_lo_u32 v8, s0, v7
	v_mul_hi_u32 v9, s0, v4
	v_mul_lo_u32 v10, s1, v4
	v_mul_lo_u32 v11, s0, v4
	v_add_u32_e32 v8, v9, v8
	v_add_u32_e32 v8, v8, v10
	v_mul_lo_u32 v12, v4, v8
	v_mul_hi_u32 v13, v4, v11
	v_mul_hi_u32 v14, v4, v8
	;; [unrolled: 1-line block ×3, first 2 shown]
	v_mul_lo_u32 v11, v7, v11
	v_mul_hi_u32 v9, v7, v8
	v_add_co_u32_e32 v12, vcc, v13, v12
	v_addc_co_u32_e32 v13, vcc, 0, v14, vcc
	v_mul_lo_u32 v8, v7, v8
	v_add_co_u32_e32 v11, vcc, v12, v11
	v_addc_co_u32_e32 v10, vcc, v13, v10, vcc
	v_addc_co_u32_e32 v9, vcc, 0, v9, vcc
	v_add_co_u32_e32 v8, vcc, v10, v8
	v_addc_co_u32_e32 v9, vcc, 0, v9, vcc
	v_add_co_u32_e32 v4, vcc, v4, v8
	v_addc_co_u32_e32 v9, vcc, v7, v9, vcc
	v_mad_u64_u32 v[7:8], s[0:1], v5, v9, 0
	v_mul_hi_u32 v10, v5, v4
	v_add_co_u32_e32 v11, vcc, v10, v7
	v_addc_co_u32_e32 v12, vcc, 0, v8, vcc
	v_mad_u64_u32 v[7:8], s[0:1], v6, v4, 0
	v_mad_u64_u32 v[9:10], s[0:1], v6, v9, 0
	v_add_co_u32_e32 v4, vcc, v11, v7
	v_addc_co_u32_e32 v4, vcc, v12, v8, vcc
	v_addc_co_u32_e32 v7, vcc, 0, v10, vcc
	v_add_co_u32_e32 v4, vcc, v4, v9
	v_addc_co_u32_e32 v9, vcc, 0, v7, vcc
	v_mul_lo_u32 v10, s19, v4
	v_mul_lo_u32 v11, s18, v9
	v_mad_u64_u32 v[7:8], s[0:1], s18, v4, 0
	v_add3_u32 v8, v8, v11, v10
	v_sub_u32_e32 v10, v6, v8
	v_mov_b32_e32 v11, s19
	v_sub_co_u32_e32 v7, vcc, v5, v7
	v_subb_co_u32_e64 v10, s[0:1], v10, v11, vcc
	v_subrev_co_u32_e64 v11, s[0:1], s18, v7
	v_subbrev_co_u32_e64 v10, s[0:1], 0, v10, s[0:1]
	v_cmp_le_u32_e64 s[0:1], s19, v10
	v_cndmask_b32_e64 v12, 0, -1, s[0:1]
	v_cmp_le_u32_e64 s[0:1], s18, v11
	v_cndmask_b32_e64 v11, 0, -1, s[0:1]
	v_cmp_eq_u32_e64 s[0:1], s19, v10
	v_cndmask_b32_e64 v10, v12, v11, s[0:1]
	v_add_co_u32_e64 v11, s[0:1], 2, v4
	v_addc_co_u32_e64 v12, s[0:1], 0, v9, s[0:1]
	v_add_co_u32_e64 v13, s[0:1], 1, v4
	v_addc_co_u32_e64 v14, s[0:1], 0, v9, s[0:1]
	v_subb_co_u32_e32 v8, vcc, v6, v8, vcc
	v_cmp_ne_u32_e64 s[0:1], 0, v10
	v_cmp_le_u32_e32 vcc, s19, v8
	v_cndmask_b32_e64 v10, v14, v12, s[0:1]
	v_cndmask_b32_e64 v12, 0, -1, vcc
	v_cmp_le_u32_e32 vcc, s18, v7
	v_cndmask_b32_e64 v7, 0, -1, vcc
	v_cmp_eq_u32_e32 vcc, s19, v8
	v_cndmask_b32_e32 v7, v12, v7, vcc
	v_cmp_ne_u32_e32 vcc, 0, v7
	v_cndmask_b32_e64 v7, v13, v11, s[0:1]
	v_cndmask_b32_e32 v8, v9, v10, vcc
	v_cndmask_b32_e32 v7, v4, v7, vcc
.LBB0_4:                                ;   in Loop: Header=BB0_2 Depth=1
	s_andn2_saveexec_b64 s[0:1], s[20:21]
	s_cbranch_execz .LBB0_6
; %bb.5:                                ;   in Loop: Header=BB0_2 Depth=1
	v_cvt_f32_u32_e32 v4, s18
	s_sub_i32 s20, 0, s18
	v_rcp_iflag_f32_e32 v4, v4
	v_mul_f32_e32 v4, 0x4f7ffffe, v4
	v_cvt_u32_f32_e32 v4, v4
	v_mul_lo_u32 v7, s20, v4
	v_mul_hi_u32 v7, v4, v7
	v_add_u32_e32 v4, v4, v7
	v_mul_hi_u32 v4, v5, v4
	v_mul_lo_u32 v7, v4, s18
	v_add_u32_e32 v8, 1, v4
	v_sub_u32_e32 v7, v5, v7
	v_subrev_u32_e32 v9, s18, v7
	v_cmp_le_u32_e32 vcc, s18, v7
	v_cndmask_b32_e32 v7, v7, v9, vcc
	v_cndmask_b32_e32 v4, v4, v8, vcc
	v_add_u32_e32 v8, 1, v4
	v_cmp_le_u32_e32 vcc, s18, v7
	v_cndmask_b32_e32 v7, v4, v8, vcc
	v_mov_b32_e32 v8, v3
.LBB0_6:                                ;   in Loop: Header=BB0_2 Depth=1
	s_or_b64 exec, exec, s[0:1]
	v_mul_lo_u32 v4, v8, s18
	v_mul_lo_u32 v11, v7, s19
	v_mad_u64_u32 v[9:10], s[0:1], v7, s18, 0
	s_load_dwordx2 s[0:1], s[6:7], 0x0
	s_add_u32 s16, s16, 1
	v_add3_u32 v4, v10, v11, v4
	v_sub_co_u32_e32 v5, vcc, v5, v9
	v_subb_co_u32_e32 v4, vcc, v6, v4, vcc
	s_waitcnt lgkmcnt(0)
	v_mul_lo_u32 v4, s0, v4
	v_mul_lo_u32 v6, s1, v5
	v_mad_u64_u32 v[1:2], s[0:1], s0, v5, v[1:2]
	s_addc_u32 s17, s17, 0
	s_add_u32 s6, s6, 8
	v_add3_u32 v2, v6, v2, v4
	v_mov_b32_e32 v4, s10
	v_mov_b32_e32 v5, s11
	s_addc_u32 s7, s7, 0
	v_cmp_ge_u64_e32 vcc, s[16:17], v[4:5]
	s_add_u32 s14, s14, 8
	s_addc_u32 s15, s15, 0
	s_cbranch_vccnz .LBB0_9
; %bb.7:                                ;   in Loop: Header=BB0_2 Depth=1
	v_mov_b32_e32 v5, v7
	v_mov_b32_e32 v6, v8
	s_branch .LBB0_2
.LBB0_8:
	v_mov_b32_e32 v8, v6
	v_mov_b32_e32 v7, v5
.LBB0_9:
	s_lshl_b64 s[0:1], s[10:11], 3
	s_add_u32 s0, s2, s0
	s_addc_u32 s1, s3, s1
	s_load_dwordx2 s[2:3], s[0:1], 0x0
	s_load_dwordx2 s[6:7], s[4:5], 0x20
	s_waitcnt lgkmcnt(0)
	v_mad_u64_u32 v[1:2], s[0:1], s2, v7, v[1:2]
	v_mul_lo_u32 v3, s2, v8
	v_mul_lo_u32 v4, s3, v7
	s_mov_b32 s0, 0x1b4e81c
	v_mul_hi_u32 v5, v0, s0
	v_cmp_gt_u64_e64 s[0:1], s[6:7], v[7:8]
	v_add3_u32 v2, v4, v2, v3
	v_lshlrev_b64 v[2:3], 2, v[1:2]
	v_mul_u32_u24_e32 v4, 0x96, v5
	v_sub_u32_e32 v0, v0, v4
	s_and_saveexec_b64 s[2:3], s[0:1]
	s_cbranch_execz .LBB0_13
; %bb.10:
	v_mov_b32_e32 v1, 0
	v_mov_b32_e32 v4, s13
	v_add_co_u32_e32 v5, vcc, s12, v2
	v_lshlrev_b64 v[6:7], 2, v[0:1]
	v_addc_co_u32_e32 v4, vcc, v4, v3, vcc
	v_add_co_u32_e32 v6, vcc, v5, v6
	v_addc_co_u32_e32 v7, vcc, v4, v7, vcc
	v_add_co_u32_e32 v8, vcc, 0x1000, v6
	v_addc_co_u32_e32 v9, vcc, 0, v7, vcc
	global_load_dword v10, v[6:7], off
	global_load_dword v11, v[6:7], off offset:600
	global_load_dword v12, v[6:7], off offset:1200
	;; [unrolled: 1-line block ×9, first 2 shown]
	s_movk_i32 s4, 0x95
	v_lshl_add_u32 v6, v0, 2, 0
	v_cmp_eq_u32_e32 vcc, s4, v0
	v_add_u32_e32 v7, 0x400, v6
	v_add_u32_e32 v8, 0x800, v6
	;; [unrolled: 1-line block ×4, first 2 shown]
	s_waitcnt vmcnt(8)
	ds_write2_b32 v6, v10, v11 offset1:150
	s_waitcnt vmcnt(6)
	ds_write2_b32 v7, v12, v13 offset0:44 offset1:194
	s_waitcnt vmcnt(4)
	ds_write2_b32 v8, v14, v15 offset0:88 offset1:238
	;; [unrolled: 2-line block ×4, first 2 shown]
	s_and_saveexec_b64 s[4:5], vcc
	s_cbranch_execz .LBB0_12
; %bb.11:
	v_add_co_u32_e32 v5, vcc, 0x1000, v5
	v_addc_co_u32_e32 v6, vcc, 0, v4, vcc
	global_load_dword v0, v[5:6], off offset:1904
	s_waitcnt vmcnt(0)
	ds_write_b32 v1, v0 offset:6000
	v_mov_b32_e32 v0, 0x95
.LBB0_12:
	s_or_b64 exec, exec, s[4:5]
.LBB0_13:
	s_or_b64 exec, exec, s[2:3]
	v_lshlrev_b32_e32 v1, 2, v0
	v_add_u32_e32 v14, 0, v1
	s_waitcnt lgkmcnt(0)
	s_barrier
	v_sub_u32_e32 v6, 0, v1
	ds_read_u16 v9, v14
	ds_read_u16 v10, v6 offset:6000
	s_add_u32 s4, s8, 0x175c
	s_addc_u32 s5, s9, 0
	v_cmp_ne_u32_e32 vcc, 0, v0
                                        ; implicit-def: $vgpr4_vgpr5
	s_waitcnt lgkmcnt(0)
	v_add_f16_e32 v7, v10, v9
	v_sub_f16_e32 v8, v9, v10
	s_and_saveexec_b64 s[2:3], vcc
	s_xor_b64 s[2:3], exec, s[2:3]
	s_cbranch_execz .LBB0_15
; %bb.14:
	v_mov_b32_e32 v1, 0
	v_lshlrev_b64 v[4:5], 2, v[0:1]
	v_mov_b32_e32 v7, s5
	v_add_co_u32_e32 v4, vcc, s4, v4
	v_addc_co_u32_e32 v5, vcc, v7, v5, vcc
	global_load_dword v4, v[4:5], off
	ds_read_u16 v5, v6 offset:6002
	ds_read_u16 v7, v14 offset:2
	v_add_f16_e32 v8, v10, v9
	v_sub_f16_e32 v9, v9, v10
	s_waitcnt lgkmcnt(0)
	v_add_f16_e32 v10, v5, v7
	v_sub_f16_e32 v5, v7, v5
	s_waitcnt vmcnt(0)
	v_lshrrev_b32_e32 v7, 16, v4
	v_fma_f16 v11, v9, v7, v8
	v_fma_f16 v12, v10, v7, v5
	v_fma_f16 v13, -v9, v7, v8
	v_fma_f16 v5, v10, v7, -v5
	v_fma_f16 v7, -v4, v10, v11
	v_fma_f16 v8, v9, v4, v12
	v_fma_f16 v10, v4, v10, v13
	;; [unrolled: 1-line block ×3, first 2 shown]
	v_pack_b32_f16 v4, v10, v4
	ds_write_b32 v6, v4 offset:6000
	v_mov_b32_e32 v5, v1
	v_mov_b32_e32 v4, v0
.LBB0_15:
	s_andn2_saveexec_b64 s[2:3], s[2:3]
	s_cbranch_execz .LBB0_17
; %bb.16:
	v_mov_b32_e32 v1, 0
	ds_read_b32 v4, v1 offset:3000
	s_mov_b32 s6, 0xc0004000
	s_waitcnt lgkmcnt(0)
	v_pk_mul_f16 v9, v4, s6
	v_mov_b32_e32 v4, 0
	v_mov_b32_e32 v5, 0
	ds_write_b32 v1, v9 offset:3000
.LBB0_17:
	s_or_b64 exec, exec, s[2:3]
	v_lshlrev_b64 v[4:5], 2, v[4:5]
	v_mov_b32_e32 v1, s5
	v_add_co_u32_e32 v4, vcc, s4, v4
	v_addc_co_u32_e32 v5, vcc, v1, v5, vcc
	global_load_dword v1, v[4:5], off offset:600
	global_load_dword v9, v[4:5], off offset:1200
	;; [unrolled: 1-line block ×4, first 2 shown]
	s_mov_b32 s2, 0x5040100
	v_perm_b32 v4, v8, v7, s2
	ds_write_b32 v14, v4
	ds_read_b32 v4, v14 offset:600
	ds_read_b32 v5, v6 offset:5400
	s_movk_i32 s2, 0x3b9c
	s_movk_i32 s3, 0x38b4
	s_mov_b32 s5, 0xffff
	s_movk_i32 s4, 0x34f2
	s_waitcnt lgkmcnt(0)
	v_add_f16_e32 v7, v4, v5
	v_add_f16_sdwa v8, v5, v4 dst_sel:DWORD dst_unused:UNUSED_PAD src0_sel:WORD_1 src1_sel:WORD_1
	v_sub_f16_e32 v12, v4, v5
	v_sub_f16_sdwa v4, v4, v5 dst_sel:DWORD dst_unused:UNUSED_PAD src0_sel:WORD_1 src1_sel:WORD_1
	s_mov_b32 s6, 0xbb9c
	s_movk_i32 s10, 0x3a79
	s_mov_b32 s7, 0xb4f2
	s_mov_b32 s11, 0xba79
	v_cmp_gt_u32_e32 vcc, 50, v0
	s_waitcnt vmcnt(3)
	v_lshrrev_b32_e32 v5, 16, v1
	v_fma_f16 v13, v12, v5, v7
	v_fma_f16 v15, v8, v5, v4
	v_fma_f16 v7, -v12, v5, v7
	v_fma_f16 v4, v8, v5, -v4
	v_fma_f16 v5, -v1, v8, v13
	v_fma_f16 v13, v12, v1, v15
	v_fma_f16 v7, v1, v8, v7
	;; [unrolled: 1-line block ×3, first 2 shown]
	v_pack_b32_f16 v4, v5, v13
	v_pack_b32_f16 v1, v7, v1
	ds_write_b32 v14, v4 offset:600
	ds_write_b32 v6, v1 offset:5400
	ds_read_b32 v5, v14 offset:1200
	ds_read_b32 v7, v6 offset:4800
	s_waitcnt vmcnt(2)
	v_lshrrev_b32_e32 v8, 16, v9
	v_add_u32_e32 v4, 0x800, v14
	v_add_u32_e32 v1, 0x400, v14
	s_waitcnt lgkmcnt(0)
	v_add_f16_e32 v12, v5, v7
	v_add_f16_sdwa v13, v7, v5 dst_sel:DWORD dst_unused:UNUSED_PAD src0_sel:WORD_1 src1_sel:WORD_1
	v_sub_f16_e32 v15, v5, v7
	v_sub_f16_sdwa v5, v5, v7 dst_sel:DWORD dst_unused:UNUSED_PAD src0_sel:WORD_1 src1_sel:WORD_1
	v_fma_f16 v7, v15, v8, v12
	v_fma_f16 v16, v13, v8, v5
	v_fma_f16 v12, -v15, v8, v12
	v_fma_f16 v5, v13, v8, -v5
	v_fma_f16 v7, -v9, v13, v7
	v_fma_f16 v8, v15, v9, v16
	v_fma_f16 v12, v9, v13, v12
	;; [unrolled: 1-line block ×3, first 2 shown]
	v_pack_b32_f16 v7, v7, v8
	v_pack_b32_f16 v5, v12, v5
	ds_write_b32 v14, v7 offset:1200
	ds_write_b32 v6, v5 offset:4800
	ds_read_b32 v7, v14 offset:1800
	ds_read_b32 v8, v6 offset:4200
	s_waitcnt vmcnt(1)
	v_lshrrev_b32_e32 v9, 16, v10
	v_add_u32_e32 v15, 0xe00, v14
	v_add_u32_e32 v5, 0x1200, v14
	s_waitcnt lgkmcnt(0)
	v_add_f16_e32 v12, v7, v8
	v_add_f16_sdwa v13, v8, v7 dst_sel:DWORD dst_unused:UNUSED_PAD src0_sel:WORD_1 src1_sel:WORD_1
	v_sub_f16_e32 v16, v7, v8
	v_sub_f16_sdwa v7, v7, v8 dst_sel:DWORD dst_unused:UNUSED_PAD src0_sel:WORD_1 src1_sel:WORD_1
	v_fma_f16 v8, v16, v9, v12
	v_fma_f16 v17, v13, v9, v7
	v_fma_f16 v12, -v16, v9, v12
	v_fma_f16 v7, v13, v9, -v7
	v_fma_f16 v8, -v10, v13, v8
	v_fma_f16 v9, v16, v10, v17
	v_fma_f16 v12, v10, v13, v12
	;; [unrolled: 1-line block ×3, first 2 shown]
	v_pack_b32_f16 v8, v8, v9
	v_pack_b32_f16 v7, v12, v7
	ds_write_b32 v14, v8 offset:1800
	ds_write_b32 v6, v7 offset:4200
	ds_read_b32 v7, v14 offset:2400
	ds_read_b32 v8, v6 offset:3600
	s_waitcnt vmcnt(0)
	v_lshrrev_b32_e32 v9, 16, v11
	s_waitcnt lgkmcnt(0)
	v_add_f16_e32 v10, v7, v8
	v_add_f16_sdwa v12, v8, v7 dst_sel:DWORD dst_unused:UNUSED_PAD src0_sel:WORD_1 src1_sel:WORD_1
	v_sub_f16_e32 v13, v7, v8
	v_sub_f16_sdwa v7, v7, v8 dst_sel:DWORD dst_unused:UNUSED_PAD src0_sel:WORD_1 src1_sel:WORD_1
	v_fma_f16 v8, v13, v9, v10
	v_fma_f16 v16, v12, v9, v7
	v_fma_f16 v10, -v13, v9, v10
	v_fma_f16 v7, v12, v9, -v7
	v_fma_f16 v8, -v11, v12, v8
	v_fma_f16 v9, v13, v11, v16
	v_fma_f16 v10, v11, v12, v10
	;; [unrolled: 1-line block ×3, first 2 shown]
	v_pack_b32_f16 v8, v8, v9
	v_pack_b32_f16 v7, v10, v7
	ds_write_b32 v14, v8 offset:2400
	ds_write_b32 v6, v7 offset:3600
	s_waitcnt lgkmcnt(0)
	s_barrier
	s_barrier
	ds_read2_b32 v[6:7], v4 offset0:88 offset1:238
	ds_read2_b32 v[8:9], v15 offset0:4 offset1:154
	;; [unrolled: 1-line block ×4, first 2 shown]
	ds_read2_b32 v[16:17], v14 offset1:150
	s_waitcnt lgkmcnt(0)
	v_pk_add_f16 v18, v7, v9
	v_pk_add_f16 v19, v11, v7 neg_lo:[0,1] neg_hi:[0,1]
	v_pk_add_f16 v20, v13, v9 neg_lo:[0,1] neg_hi:[0,1]
	;; [unrolled: 1-line block ×4, first 2 shown]
	v_pk_add_f16 v23, v17, v11
	v_pk_add_f16 v19, v19, v20
	v_pk_fma_f16 v18, v18, 0.5, v17 op_sel_hi:[1,0,1] neg_lo:[1,0,0] neg_hi:[1,0,0]
	v_pk_mul_f16 v20, v21, s2 op_sel_hi:[1,0]
	v_pk_mul_f16 v24, v22, s3 op_sel_hi:[1,0]
	v_pk_add_f16 v23, v23, v7
	v_pk_add_f16 v25, v18, v20 op_sel:[0,1] op_sel_hi:[1,0] neg_lo:[0,1] neg_hi:[0,1]
	v_pk_add_f16 v18, v18, v20 op_sel:[0,1] op_sel_hi:[1,0]
	v_pk_add_f16 v20, v23, v9
	v_pk_add_f16 v23, v25, v24 op_sel:[0,1] op_sel_hi:[1,0] neg_lo:[0,1] neg_hi:[0,1]
	v_pk_add_f16 v18, v18, v24 op_sel:[0,1] op_sel_hi:[1,0]
	v_bfi_b32 v24, s5, v23, v18
	v_lshl_add_u32 v25, v0, 4, v14
	v_pk_add_f16 v20, v20, v13
	v_pk_fma_f16 v24, v19, s4, v24 op_sel_hi:[1,0,1]
	v_add_u32_e32 v26, 0xbb8, v25
	s_barrier
	ds_write2_b32 v26, v20, v24 offset1:1
	v_pk_add_f16 v20, v10, v6 neg_lo:[0,1] neg_hi:[0,1]
	v_pk_add_f16 v24, v12, v8 neg_lo:[0,1] neg_hi:[0,1]
	v_pk_add_f16 v20, v20, v24
	v_pk_add_f16 v24, v6, v8
	v_pk_add_f16 v26, v10, v12 neg_lo:[0,1] neg_hi:[0,1]
	v_pk_fma_f16 v24, v24, 0.5, v16 op_sel_hi:[1,0,1] neg_lo:[1,0,0] neg_hi:[1,0,0]
	v_pk_mul_f16 v27, v26, s2 op_sel_hi:[1,0]
	v_pk_add_f16 v28, v24, v27 op_sel:[0,1] op_sel_hi:[1,0] neg_lo:[0,1] neg_hi:[0,1]
	v_pk_add_f16 v24, v24, v27 op_sel:[0,1] op_sel_hi:[1,0]
	v_pk_add_f16 v27, v6, v8 neg_lo:[0,1] neg_hi:[0,1]
	v_pk_mul_f16 v29, v27, s3 op_sel_hi:[1,0]
	v_pk_add_f16 v28, v28, v29 op_sel:[0,1] op_sel_hi:[1,0] neg_lo:[0,1] neg_hi:[0,1]
	v_pk_add_f16 v24, v24, v29 op_sel:[0,1] op_sel_hi:[1,0]
	v_pk_add_f16 v29, v16, v10
	v_pk_add_f16 v29, v29, v6
	;; [unrolled: 1-line block ×3, first 2 shown]
	v_pk_add_f16 v6, v6, v10 neg_lo:[0,1] neg_hi:[0,1]
	v_pk_add_f16 v8, v8, v12 neg_lo:[0,1] neg_hi:[0,1]
	v_pk_add_f16 v6, v6, v8
	v_pk_add_f16 v8, v10, v12
	v_pk_fma_f16 v8, v8, 0.5, v16 op_sel_hi:[1,0,1] neg_lo:[1,0,0] neg_hi:[1,0,0]
	v_pk_mul_f16 v10, v27, s2 op_sel_hi:[1,0]
	v_pk_add_f16 v29, v29, v12
	v_pk_add_f16 v12, v8, v10 op_sel:[0,1] op_sel_hi:[1,0]
	v_pk_add_f16 v8, v8, v10 op_sel:[0,1] op_sel_hi:[1,0] neg_lo:[0,1] neg_hi:[0,1]
	v_pk_mul_f16 v10, v26, s3 op_sel_hi:[1,0]
	v_pk_add_f16 v12, v12, v10 op_sel:[0,1] op_sel_hi:[1,0] neg_lo:[0,1] neg_hi:[0,1]
	v_pk_add_f16 v8, v8, v10 op_sel:[0,1] op_sel_hi:[1,0]
	v_bfi_b32 v10, s5, v12, v8
	v_bfi_b32 v8, s5, v8, v12
	v_pk_fma_f16 v10, v6, s4, v10 op_sel_hi:[1,0,1]
	v_pk_fma_f16 v6, v6, s4, v8 op_sel_hi:[1,0,1]
	ds_write2_b32 v25, v10, v6 offset0:2 offset1:3
	v_pk_add_f16 v6, v7, v11 neg_lo:[0,1] neg_hi:[0,1]
	v_pk_add_f16 v7, v11, v13
	v_pk_add_f16 v9, v9, v13 neg_lo:[0,1] neg_hi:[0,1]
	v_pk_fma_f16 v7, v7, 0.5, v17 op_sel_hi:[1,0,1] neg_lo:[1,0,0] neg_hi:[1,0,0]
	v_pk_add_f16 v6, v6, v9
	v_pk_mul_f16 v9, v22, s2 op_sel_hi:[1,0]
	v_pk_mul_f16 v10, v21, s3 op_sel_hi:[1,0]
	v_pk_add_f16 v11, v7, v9 op_sel:[0,1] op_sel_hi:[1,0]
	v_pk_add_f16 v7, v7, v9 op_sel:[0,1] op_sel_hi:[1,0] neg_lo:[0,1] neg_hi:[0,1]
	v_bfi_b32 v8, s5, v24, v28
	v_pk_add_f16 v9, v11, v10 op_sel:[0,1] op_sel_hi:[1,0] neg_lo:[0,1] neg_hi:[0,1]
	v_pk_add_f16 v7, v7, v10 op_sel:[0,1] op_sel_hi:[1,0]
	v_pk_fma_f16 v8, v20, s4, v8 op_sel_hi:[1,0,1]
	v_bfi_b32 v10, s5, v9, v7
	v_bfi_b32 v7, s5, v7, v9
	ds_write_b32 v25, v8 offset:16
	v_add_u32_e32 v8, 0xbc0, v25
	v_pk_fma_f16 v10, v6, s4, v10 op_sel_hi:[1,0,1]
	v_pk_fma_f16 v6, v6, s4, v7 op_sel_hi:[1,0,1]
	ds_write2_b32 v8, v10, v6 offset1:1
	v_bfi_b32 v6, s5, v18, v23
	v_bfi_b32 v30, s5, v28, v24
	v_pk_fma_f16 v6, v19, s4, v6 op_sel_hi:[1,0,1]
	s_movk_i32 s5, 0xcd
	ds_write_b32 v25, v6 offset:3016
	v_mul_lo_u16_sdwa v6, v0, s5 dst_sel:DWORD dst_unused:UNUSED_PAD src0_sel:BYTE_0 src1_sel:DWORD
	v_pk_fma_f16 v30, v20, s4, v30 op_sel_hi:[1,0,1]
	v_lshrrev_b16_e32 v20, 10, v6
	v_mul_lo_u16_e32 v6, 5, v20
	v_sub_u16_e32 v21, v0, v6
	v_mov_b32_e32 v22, 9
	v_mul_u32_u24_sdwa v6, v21, v22 dst_sel:DWORD dst_unused:UNUSED_PAD src0_sel:BYTE_0 src1_sel:DWORD
	v_lshlrev_b32_e32 v16, 2, v6
	ds_write2_b32 v25, v29, v30 offset1:1
	s_waitcnt lgkmcnt(0)
	s_barrier
	global_load_dwordx4 v[6:9], v16, s[8:9]
	global_load_dwordx4 v[10:13], v16, s[8:9] offset:16
	global_load_dword v23, v16, s[8:9] offset:32
	ds_read2_b32 v[16:17], v1 offset0:44 offset1:194
	s_mov_b32 s5, 0xb8b4
	v_mul_u32_u24_e32 v20, 0xc8, v20
	s_waitcnt lgkmcnt(0)
	v_lshrrev_b32_e32 v18, 16, v16
	s_waitcnt vmcnt(2)
	v_mul_f16_sdwa v19, v7, v16 dst_sel:DWORD dst_unused:UNUSED_PAD src0_sel:WORD_1 src1_sel:DWORD
	v_mul_f16_sdwa v24, v7, v18 dst_sel:DWORD dst_unused:UNUSED_PAD src0_sel:WORD_1 src1_sel:DWORD
	v_fma_f16 v25, v7, v18, -v19
	v_fma_f16 v16, v7, v16, v24
	v_lshrrev_b32_e32 v7, 16, v17
	ds_read2_b32 v[18:19], v14 offset1:150
	v_mul_f16_sdwa v24, v8, v7 dst_sel:DWORD dst_unused:UNUSED_PAD src0_sel:WORD_1 src1_sel:DWORD
	v_fma_f16 v24, v8, v17, v24
	v_mul_f16_sdwa v17, v8, v17 dst_sel:DWORD dst_unused:UNUSED_PAD src0_sel:WORD_1 src1_sel:DWORD
	v_fma_f16 v17, v8, v7, -v17
	ds_read2_b32 v[7:8], v4 offset0:88 offset1:238
	s_waitcnt lgkmcnt(1)
	v_lshrrev_b32_e32 v26, 16, v19
	v_mul_f16_sdwa v27, v6, v19 dst_sel:DWORD dst_unused:UNUSED_PAD src0_sel:WORD_1 src1_sel:DWORD
	v_fma_f16 v27, v6, v26, -v27
	v_mul_f16_sdwa v26, v6, v26 dst_sel:DWORD dst_unused:UNUSED_PAD src0_sel:WORD_1 src1_sel:DWORD
	v_fma_f16 v19, v6, v19, v26
	s_waitcnt lgkmcnt(0)
	v_lshrrev_b32_e32 v6, 16, v7
	v_mul_f16_sdwa v26, v9, v7 dst_sel:DWORD dst_unused:UNUSED_PAD src0_sel:WORD_1 src1_sel:DWORD
	v_fma_f16 v26, v9, v6, -v26
	v_mul_f16_sdwa v6, v9, v6 dst_sel:DWORD dst_unused:UNUSED_PAD src0_sel:WORD_1 src1_sel:DWORD
	v_fma_f16 v28, v9, v7, v6
	ds_read2_b32 v[6:7], v15 offset0:4 offset1:154
	v_lshrrev_b32_e32 v9, 16, v8
	s_waitcnt vmcnt(1)
	v_mul_f16_sdwa v29, v10, v9 dst_sel:DWORD dst_unused:UNUSED_PAD src0_sel:WORD_1 src1_sel:DWORD
	v_fma_f16 v29, v10, v8, v29
	v_mul_f16_sdwa v8, v10, v8 dst_sel:DWORD dst_unused:UNUSED_PAD src0_sel:WORD_1 src1_sel:DWORD
	v_fma_f16 v10, v10, v9, -v8
	s_waitcnt lgkmcnt(0)
	v_lshrrev_b32_e32 v8, 16, v6
	v_mul_f16_sdwa v9, v6, v11 dst_sel:DWORD dst_unused:UNUSED_PAD src0_sel:DWORD src1_sel:WORD_1
	v_fma_f16 v30, v8, v11, -v9
	v_mul_f16_sdwa v8, v8, v11 dst_sel:DWORD dst_unused:UNUSED_PAD src0_sel:DWORD src1_sel:WORD_1
	v_fma_f16 v6, v6, v11, v8
	ds_read2_b32 v[8:9], v5 offset0:48 offset1:198
	v_lshrrev_b32_e32 v11, 16, v7
	v_mul_f16_sdwa v31, v11, v12 dst_sel:DWORD dst_unused:UNUSED_PAD src0_sel:DWORD src1_sel:WORD_1
	v_fma_f16 v31, v7, v12, v31
	v_mul_f16_sdwa v7, v7, v12 dst_sel:DWORD dst_unused:UNUSED_PAD src0_sel:DWORD src1_sel:WORD_1
	v_fma_f16 v7, v11, v12, -v7
	s_waitcnt lgkmcnt(0)
	v_lshrrev_b32_e32 v11, 16, v8
	v_mul_f16_sdwa v12, v8, v13 dst_sel:DWORD dst_unused:UNUSED_PAD src0_sel:DWORD src1_sel:WORD_1
	v_fma_f16 v12, v11, v13, -v12
	v_mul_f16_sdwa v11, v11, v13 dst_sel:DWORD dst_unused:UNUSED_PAD src0_sel:DWORD src1_sel:WORD_1
	v_fma_f16 v8, v8, v13, v11
	v_lshrrev_b32_e32 v11, 16, v9
	s_waitcnt vmcnt(0)
	v_mul_f16_sdwa v13, v11, v23 dst_sel:DWORD dst_unused:UNUSED_PAD src0_sel:DWORD src1_sel:WORD_1
	v_sub_f16_e32 v33, v16, v28
	v_sub_f16_e32 v34, v8, v6
	v_fma_f16 v13, v9, v23, v13
	v_mul_f16_sdwa v9, v9, v23 dst_sel:DWORD dst_unused:UNUSED_PAD src0_sel:DWORD src1_sel:WORD_1
	v_add_f16_e32 v33, v33, v34
	v_sub_f16_e32 v34, v25, v26
	v_sub_f16_e32 v35, v12, v30
	v_fma_f16 v9, v11, v23, -v9
	v_add_f16_e32 v34, v34, v35
	v_sub_f16_e32 v35, v24, v29
	v_sub_f16_e32 v36, v13, v31
	v_add_f16_e32 v35, v35, v36
	v_sub_f16_e32 v36, v17, v10
	v_sub_f16_e32 v37, v9, v7
	v_add_f16_e32 v41, v10, v7
	v_add_f16_e32 v36, v36, v37
	;; [unrolled: 1-line block ×3, first 2 shown]
	v_fma_f16 v41, v41, -0.5, v27
	v_sub_f16_e32 v42, v24, v13
	v_fma_f16 v37, v37, -0.5, v19
	v_sub_f16_e32 v38, v17, v9
	v_fma_f16 v43, v42, s2, v41
	v_sub_f16_e32 v44, v29, v31
	v_fma_f16 v39, v38, s6, v37
	;; [unrolled: 2-line block ×3, first 2 shown]
	v_fma_f16 v39, v40, s5, v39
	v_fma_f16 v43, v36, s4, v43
	;; [unrolled: 1-line block ×3, first 2 shown]
	v_mul_f16_e32 v45, 0xb8b4, v43
	v_mul_f16_e32 v43, 0x3a79, v43
	v_fma_f16 v45, v39, s10, v45
	v_fma_f16 v39, v39, s3, v43
	v_mov_b32_e32 v43, 2
	v_add_f16_e32 v11, v28, v6
	v_add_f16_e32 v23, v16, v8
	v_lshrrev_b32_e32 v32, 16, v18
	v_lshlrev_b32_sdwa v21, v43, v21 dst_sel:DWORD dst_unused:UNUSED_PAD src0_sel:DWORD src1_sel:BYTE_0
	v_fma_f16 v11, v11, -0.5, v18
	v_fma_f16 v23, v23, -0.5, v18
	v_add_f16_e32 v18, v18, v16
	v_add3_u32 v20, 0, v20, v21
	v_add_f16_e32 v21, v32, v25
	v_add_f16_e32 v46, v19, v24
	v_add_f16_e32 v47, v27, v17
	v_add_f16_e32 v18, v18, v28
	v_add_f16_e32 v21, v21, v26
	v_add_f16_e32 v46, v46, v29
	v_add_f16_e32 v47, v47, v10
	v_add_f16_e32 v18, v18, v6
	v_add_f16_e32 v21, v21, v30
	v_add_f16_e32 v46, v46, v31
	v_add_f16_e32 v47, v47, v7
	v_add_f16_e32 v18, v18, v8
	v_add_f16_e32 v21, v21, v12
	v_add_f16_e32 v46, v46, v13
	v_add_f16_e32 v47, v47, v9
	v_add_f16_e32 v48, v18, v46
	v_add_f16_e32 v49, v21, v47
	v_sub_f16_e32 v51, v26, v30
	v_sub_f16_e32 v53, v16, v8
	v_sub_f16_e32 v55, v28, v6
	v_sub_f16_e32 v16, v28, v16
	v_sub_f16_e32 v6, v6, v8
	v_pack_b32_f16 v48, v48, v49
	v_sub_f16_e32 v49, v25, v12
	v_add_f16_e32 v6, v16, v6
	v_fma_f16 v8, v51, s2, v23
	v_fma_f16 v16, v51, s6, v23
	v_fma_f16 v8, v49, s5, v8
	v_fma_f16 v16, v49, s3, v16
	v_fma_f16 v8, v6, s4, v8
	v_fma_f16 v6, v6, s4, v16
	v_add_f16_e32 v16, v25, v12
	v_fma_f16 v16, v16, -0.5, v32
	v_sub_f16_e32 v23, v26, v25
	v_sub_f16_e32 v12, v30, v12
	v_add_f16_e32 v12, v23, v12
	v_fma_f16 v23, v55, s6, v16
	v_fma_f16 v16, v55, s2, v16
	v_fma_f16 v23, v53, s3, v23
	v_fma_f16 v16, v53, s5, v16
	v_fma_f16 v23, v12, s4, v23
	v_fma_f16 v12, v12, s4, v16
	v_add_f16_e32 v16, v24, v13
	v_fma_f16 v16, v16, -0.5, v19
	v_sub_f16_e32 v19, v29, v24
	;; [unrolled: 11-line block ×3, first 2 shown]
	v_sub_f16_e32 v7, v7, v9
	v_fma_f16 v9, v44, s6, v16
	v_add_f16_e32 v7, v10, v7
	v_fma_f16 v9, v42, s3, v9
	v_fma_f16 v10, v44, s2, v16
	;; [unrolled: 1-line block ×5, first 2 shown]
	v_mul_f16_e32 v10, 0xbb9c, v9
	v_mul_f16_e32 v9, 0x34f2, v9
	v_fma_f16 v10, v19, s4, v10
	v_fma_f16 v9, v19, s2, v9
	v_mul_f16_e32 v16, 0xbb9c, v7
	v_mul_f16_e32 v7, 0xb4f2, v7
	v_fma_f16 v16, v13, s7, v16
	v_fma_f16 v7, v13, s2, v7
	v_add_f16_e32 v13, v8, v10
	v_add_f16_e32 v17, v23, v9
	v_pack_b32_f16 v13, v13, v17
	v_add_f16_e32 v17, v6, v16
	v_add_f16_e32 v19, v12, v7
	;; [unrolled: 1-line block ×3, first 2 shown]
	v_pack_b32_f16 v17, v17, v19
	v_fma_f16 v19, v42, s6, v41
	v_fma_f16 v52, v52, -0.5, v32
	s_barrier
	ds_write2_b32 v20, v13, v17 offset0:10 offset1:15
	v_fma_f16 v17, v38, s2, v37
	v_fma_f16 v19, v44, s5, v19
	;; [unrolled: 1-line block ×10, first 2 shown]
	v_mul_f16_e32 v24, 0xb8b4, v19
	v_mul_f16_e32 v19, 0xba79, v19
	v_fma_f16 v54, v53, s2, v52
	v_fma_f16 v11, v33, s4, v11
	;; [unrolled: 1-line block ×7, first 2 shown]
	v_sub_f16_e32 v8, v8, v10
	v_sub_f16_e32 v6, v6, v16
	v_add_f16_e32 v10, v11, v24
	v_sub_f16_e32 v11, v11, v24
	v_sub_f16_e32 v7, v12, v7
	v_add_f16_e32 v12, v13, v17
	v_sub_f16_e32 v13, v13, v17
	v_fma_f16 v50, v33, s4, v50
	v_fma_f16 v54, v34, s4, v54
	v_sub_f16_e32 v18, v18, v46
	v_sub_f16_e32 v16, v21, v47
	v_pack_b32_f16 v6, v6, v7
	v_pack_b32_f16 v7, v11, v13
	v_add_f16_e32 v56, v50, v45
	v_add_f16_e32 v57, v54, v39
	v_sub_f16_e32 v19, v50, v45
	v_sub_f16_e32 v21, v54, v39
	;; [unrolled: 1-line block ×3, first 2 shown]
	v_pack_b32_f16 v10, v10, v12
	v_pack_b32_f16 v12, v18, v16
	ds_write2_b32 v20, v6, v7 offset0:40 offset1:45
	v_mov_b32_e32 v6, 41
	v_pack_b32_f16 v56, v56, v57
	ds_write2_b32 v20, v10, v12 offset0:20 offset1:25
	v_pack_b32_f16 v10, v19, v21
	v_pack_b32_f16 v8, v8, v9
	v_mul_lo_u16_sdwa v6, v0, v6 dst_sel:DWORD dst_unused:UNUSED_PAD src0_sel:BYTE_0 src1_sel:DWORD
	ds_write2_b32 v20, v48, v56 offset1:5
	ds_write2_b32 v20, v10, v8 offset0:30 offset1:35
	v_lshrrev_b16_e32 v20, 11, v6
	v_mul_lo_u16_e32 v6, 50, v20
	v_sub_u16_e32 v21, v0, v6
	v_mul_u32_u24_sdwa v6, v21, v22 dst_sel:DWORD dst_unused:UNUSED_PAD src0_sel:BYTE_0 src1_sel:DWORD
	v_lshlrev_b32_e32 v16, 2, v6
	s_waitcnt lgkmcnt(0)
	s_barrier
	global_load_dwordx4 v[6:9], v16, s[8:9] offset:180
	global_load_dwordx4 v[10:13], v16, s[8:9] offset:196
	global_load_dword v22, v16, s[8:9] offset:212
	ds_read2_b32 v[16:17], v1 offset0:44 offset1:194
	v_lshlrev_b32_sdwa v21, v43, v21 dst_sel:DWORD dst_unused:UNUSED_PAD src0_sel:DWORD src1_sel:BYTE_0
	v_mul_u32_u24_e32 v20, 0x7d0, v20
	v_add3_u32 v20, 0, v20, v21
	s_waitcnt lgkmcnt(0)
	v_lshrrev_b32_e32 v18, 16, v16
	s_waitcnt vmcnt(2)
	v_mul_f16_sdwa v19, v7, v16 dst_sel:DWORD dst_unused:UNUSED_PAD src0_sel:WORD_1 src1_sel:DWORD
	v_fma_f16 v23, v7, v18, -v19
	v_mul_f16_sdwa v18, v7, v18 dst_sel:DWORD dst_unused:UNUSED_PAD src0_sel:WORD_1 src1_sel:DWORD
	v_fma_f16 v16, v7, v16, v18
	v_lshrrev_b32_e32 v7, 16, v17
	ds_read2_b32 v[18:19], v14 offset1:150
	v_mul_f16_sdwa v24, v8, v7 dst_sel:DWORD dst_unused:UNUSED_PAD src0_sel:WORD_1 src1_sel:DWORD
	v_fma_f16 v24, v8, v17, v24
	v_mul_f16_sdwa v17, v8, v17 dst_sel:DWORD dst_unused:UNUSED_PAD src0_sel:WORD_1 src1_sel:DWORD
	v_fma_f16 v17, v8, v7, -v17
	ds_read2_b32 v[7:8], v4 offset0:88 offset1:238
	s_waitcnt lgkmcnt(1)
	v_lshrrev_b32_e32 v25, 16, v19
	v_mul_f16_sdwa v4, v6, v19 dst_sel:DWORD dst_unused:UNUSED_PAD src0_sel:WORD_1 src1_sel:DWORD
	v_fma_f16 v26, v6, v25, -v4
	v_mul_f16_sdwa v4, v6, v25 dst_sel:DWORD dst_unused:UNUSED_PAD src0_sel:WORD_1 src1_sel:DWORD
	v_fma_f16 v19, v6, v19, v4
	s_waitcnt lgkmcnt(0)
	v_lshrrev_b32_e32 v4, 16, v7
	v_mul_f16_sdwa v6, v9, v7 dst_sel:DWORD dst_unused:UNUSED_PAD src0_sel:WORD_1 src1_sel:DWORD
	v_fma_f16 v25, v9, v4, -v6
	v_mul_f16_sdwa v4, v9, v4 dst_sel:DWORD dst_unused:UNUSED_PAD src0_sel:WORD_1 src1_sel:DWORD
	v_fma_f16 v9, v9, v7, v4
	ds_read2_b32 v[6:7], v15 offset0:4 offset1:154
	v_lshrrev_b32_e32 v4, 16, v8
	s_waitcnt vmcnt(1)
	v_mul_f16_sdwa v27, v10, v4 dst_sel:DWORD dst_unused:UNUSED_PAD src0_sel:WORD_1 src1_sel:DWORD
	v_fma_f16 v27, v10, v8, v27
	v_mul_f16_sdwa v8, v10, v8 dst_sel:DWORD dst_unused:UNUSED_PAD src0_sel:WORD_1 src1_sel:DWORD
	v_fma_f16 v8, v10, v4, -v8
	s_waitcnt lgkmcnt(0)
	v_lshrrev_b32_e32 v4, 16, v6
	v_mul_f16_sdwa v10, v6, v11 dst_sel:DWORD dst_unused:UNUSED_PAD src0_sel:DWORD src1_sel:WORD_1
	v_fma_f16 v10, v4, v11, -v10
	v_mul_f16_sdwa v4, v4, v11 dst_sel:DWORD dst_unused:UNUSED_PAD src0_sel:DWORD src1_sel:WORD_1
	v_fma_f16 v6, v6, v11, v4
	ds_read2_b32 v[4:5], v5 offset0:48 offset1:198
	v_lshrrev_b32_e32 v11, 16, v7
	v_mul_f16_sdwa v28, v11, v12 dst_sel:DWORD dst_unused:UNUSED_PAD src0_sel:DWORD src1_sel:WORD_1
	v_fma_f16 v28, v7, v12, v28
	v_mul_f16_sdwa v7, v7, v12 dst_sel:DWORD dst_unused:UNUSED_PAD src0_sel:DWORD src1_sel:WORD_1
	v_fma_f16 v7, v11, v12, -v7
	s_waitcnt lgkmcnt(0)
	v_lshrrev_b32_e32 v11, 16, v4
	v_mul_f16_sdwa v12, v4, v13 dst_sel:DWORD dst_unused:UNUSED_PAD src0_sel:DWORD src1_sel:WORD_1
	v_fma_f16 v12, v11, v13, -v12
	v_mul_f16_sdwa v11, v11, v13 dst_sel:DWORD dst_unused:UNUSED_PAD src0_sel:DWORD src1_sel:WORD_1
	v_fma_f16 v4, v4, v13, v11
	v_lshrrev_b32_e32 v11, 16, v5
	s_waitcnt vmcnt(0)
	v_mul_f16_sdwa v13, v11, v22 dst_sel:DWORD dst_unused:UNUSED_PAD src0_sel:DWORD src1_sel:WORD_1
	v_sub_f16_e32 v30, v16, v9
	v_sub_f16_e32 v31, v4, v6
	v_fma_f16 v13, v5, v22, v13
	v_mul_f16_sdwa v5, v5, v22 dst_sel:DWORD dst_unused:UNUSED_PAD src0_sel:DWORD src1_sel:WORD_1
	v_add_f16_e32 v30, v30, v31
	v_sub_f16_e32 v31, v23, v25
	v_sub_f16_e32 v32, v12, v10
	v_fma_f16 v5, v11, v22, -v5
	v_add_f16_e32 v31, v31, v32
	v_sub_f16_e32 v32, v24, v27
	v_sub_f16_e32 v33, v13, v28
	v_add_f16_e32 v32, v32, v33
	v_sub_f16_e32 v33, v17, v8
	v_sub_f16_e32 v34, v5, v7
	v_add_f16_e32 v38, v8, v7
	v_add_f16_e32 v33, v33, v34
	;; [unrolled: 1-line block ×3, first 2 shown]
	v_fma_f16 v38, v38, -0.5, v26
	v_sub_f16_e32 v39, v24, v13
	v_fma_f16 v34, v34, -0.5, v19
	v_sub_f16_e32 v35, v17, v5
	v_fma_f16 v40, v39, s2, v38
	v_sub_f16_e32 v41, v27, v28
	v_fma_f16 v36, v35, s6, v34
	;; [unrolled: 2-line block ×3, first 2 shown]
	v_add_f16_e32 v11, v9, v6
	v_add_f16_e32 v22, v16, v4
	v_fma_f16 v36, v37, s5, v36
	v_fma_f16 v40, v33, s4, v40
	v_fma_f16 v11, v11, -0.5, v18
	v_fma_f16 v22, v22, -0.5, v18
	v_lshrrev_b32_e32 v29, 16, v18
	v_add_f16_e32 v18, v18, v16
	v_fma_f16 v36, v32, s4, v36
	v_mul_f16_e32 v42, 0xb8b4, v40
	v_mul_f16_e32 v40, 0x3a79, v40
	v_fma_f16 v42, v36, s10, v42
	v_fma_f16 v36, v36, s3, v40
	v_add_f16_e32 v18, v18, v9
	v_add_f16_e32 v21, v29, v23
	;; [unrolled: 1-line block ×12, first 2 shown]
	v_sub_f16_e32 v47, v25, v10
	v_sub_f16_e32 v49, v16, v4
	;; [unrolled: 1-line block ×5, first 2 shown]
	v_add_f16_e32 v21, v21, v12
	v_add_f16_e32 v40, v40, v13
	;; [unrolled: 1-line block ×5, first 2 shown]
	v_fma_f16 v6, v47, s2, v22
	v_fma_f16 v9, v47, s6, v22
	v_sub_f16_e32 v22, v25, v23
	v_sub_f16_e32 v10, v10, v12
	v_add_f16_e32 v44, v18, v40
	v_add_f16_e32 v45, v21, v43
	;; [unrolled: 1-line block ×4, first 2 shown]
	v_pack_b32_f16 v44, v44, v45
	v_sub_f16_e32 v45, v23, v12
	v_add_f16_e32 v16, v23, v12
	v_fma_f16 v19, v22, -0.5, v19
	v_sub_f16_e32 v22, v27, v24
	v_sub_f16_e32 v13, v28, v13
	v_add_f16_e32 v23, v17, v5
	v_fma_f16 v16, v16, -0.5, v29
	v_add_f16_e32 v13, v22, v13
	v_fma_f16 v22, v37, s2, v19
	v_fma_f16 v19, v37, s6, v19
	v_fma_f16 v23, v23, -0.5, v26
	v_sub_f16_e32 v8, v8, v17
	v_sub_f16_e32 v5, v7, v5
	v_fma_f16 v12, v51, s6, v16
	v_fma_f16 v16, v51, s2, v16
	;; [unrolled: 1-line block ×4, first 2 shown]
	v_add_f16_e32 v5, v8, v5
	v_fma_f16 v7, v41, s6, v23
	v_fma_f16 v8, v41, s2, v23
	;; [unrolled: 1-line block ×16, first 2 shown]
	v_fma_f16 v48, v48, -0.5, v29
	v_fma_f16 v11, v45, s2, v11
	v_fma_f16 v6, v45, s5, v6
	;; [unrolled: 1-line block ×5, first 2 shown]
	v_mul_f16_e32 v17, 0xbb9c, v5
	v_mul_f16_e32 v5, 0xb4f2, v5
	v_fma_f16 v11, v47, s3, v11
	v_fma_f16 v6, v4, s4, v6
	;; [unrolled: 1-line block ×5, first 2 shown]
	v_mul_f16_e32 v8, 0xbb9c, v7
	v_mul_f16_e32 v7, 0x34f2, v7
	v_fma_f16 v17, v13, s7, v17
	v_fma_f16 v5, v13, s2, v5
	v_mul_f16_e32 v13, 0xb8b4, v19
	v_fma_f16 v50, v49, s2, v48
	v_fma_f16 v11, v30, s4, v11
	;; [unrolled: 1-line block ×6, first 2 shown]
	v_mul_f16_e32 v19, 0xba79, v19
	v_fma_f16 v46, v47, s5, v46
	v_fma_f16 v50, v51, s3, v50
	;; [unrolled: 1-line block ×4, first 2 shown]
	v_add_f16_e32 v23, v6, v8
	v_sub_f16_e32 v6, v6, v8
	v_add_f16_e32 v8, v4, v17
	v_add_f16_e32 v24, v11, v13
	v_sub_f16_e32 v16, v11, v13
	v_sub_f16_e32 v11, v21, v43
	v_add_f16_e32 v21, v12, v7
	v_sub_f16_e32 v7, v12, v7
	v_add_f16_e32 v12, v10, v5
	v_fma_f16 v46, v30, s4, v46
	v_fma_f16 v50, v31, s4, v50
	v_sub_f16_e32 v18, v18, v40
	v_sub_f16_e32 v4, v4, v17
	;; [unrolled: 1-line block ×3, first 2 shown]
	v_add_f16_e32 v10, v9, v19
	v_sub_f16_e32 v17, v9, v19
	v_pack_b32_f16 v9, v23, v21
	v_pack_b32_f16 v8, v8, v12
	v_add_f16_e32 v52, v46, v42
	v_add_f16_e32 v53, v50, v36
	s_barrier
	v_sub_f16_e32 v22, v46, v42
	v_sub_f16_e32 v13, v50, v36
	ds_write2_b32 v20, v9, v8 offset0:100 offset1:150
	v_pack_b32_f16 v8, v24, v10
	v_pack_b32_f16 v9, v18, v11
	;; [unrolled: 1-line block ×3, first 2 shown]
	ds_write2_b32 v20, v8, v9 offset0:200 offset1:250
	v_pack_b32_f16 v8, v22, v13
	v_pack_b32_f16 v6, v6, v7
	v_add_u32_e32 v7, 0x400, v20
	v_pack_b32_f16 v4, v4, v5
	v_pack_b32_f16 v5, v16, v17
	ds_write2_b32 v20, v44, v52 offset1:50
	ds_write2_b32 v7, v8, v6 offset0:44 offset1:94
	ds_write2_b32 v7, v4, v5 offset0:144 offset1:194
	s_waitcnt lgkmcnt(0)
	s_barrier
	ds_read2_b32 v[6:7], v14 offset1:150
	ds_read2_b32 v[4:5], v1 offset0:44 offset1:244
	ds_read2_b32 v[10:11], v15 offset0:104 offset1:254
	v_add_u32_e32 v22, 0xa00, v14
	ds_read2_b32 v[12:13], v22 offset0:10 offset1:160
	ds_read_b32 v23, v14 offset:5200
                                        ; implicit-def: $vgpr19
                                        ; implicit-def: $vgpr18
                                        ; implicit-def: $vgpr21
                                        ; implicit-def: $vgpr20
	s_and_saveexec_b64 s[2:3], vcc
	s_cbranch_execz .LBB0_19
; %bb.18:
	ds_read_b32 v16, v14 offset:1800
	ds_read_b32 v18, v14 offset:5800
	ds_read_b32 v20, v14 offset:3800
	s_waitcnt lgkmcnt(2)
	v_lshrrev_b32_e32 v17, 16, v16
	s_waitcnt lgkmcnt(1)
	v_lshrrev_b32_e32 v19, 16, v18
	;; [unrolled: 2-line block ×3, first 2 shown]
.LBB0_19:
	s_or_b64 exec, exec, s[2:3]
	v_lshlrev_b32_e32 v8, 1, v0
	v_mov_b32_e32 v9, 0
	v_lshlrev_b64 v[24:25], 2, v[8:9]
	v_add_u32_e32 v26, 0x12c, v8
	v_mov_b32_e32 v27, v9
	v_mov_b32_e32 v30, s9
	v_add_co_u32_e64 v24, s[2:3], s8, v24
	v_lshlrev_b64 v[26:27], 2, v[26:27]
	v_addc_co_u32_e64 v25, s[2:3], v30, v25, s[2:3]
	v_add_u32_e32 v8, 0x258, v8
	v_add_co_u32_e64 v26, s[2:3], s8, v26
	v_lshlrev_b64 v[28:29], 2, v[8:9]
	v_addc_co_u32_e64 v27, s[2:3], v30, v27, s[2:3]
	v_add_co_u32_e64 v28, s[2:3], s8, v28
	global_load_dwordx2 v[24:25], v[24:25], off offset:1980
	v_addc_co_u32_e64 v29, s[2:3], v30, v29, s[2:3]
	global_load_dwordx2 v[26:27], v[26:27], off offset:1980
	s_waitcnt lgkmcnt(2)
	v_lshrrev_b32_e32 v36, 16, v10
	global_load_dwordx2 v[28:29], v[28:29], off offset:1980
	v_lshrrev_b32_e32 v37, 16, v5
	s_waitcnt lgkmcnt(1)
	v_lshrrev_b32_e32 v33, 16, v13
	v_lshrrev_b32_e32 v34, 16, v11
	;; [unrolled: 1-line block ×4, first 2 shown]
	s_waitcnt lgkmcnt(0)
	v_lshrrev_b32_e32 v32, 16, v23
	v_lshrrev_b32_e32 v30, 16, v7
	s_mov_b32 s4, 0xbaee
	s_movk_i32 s5, 0x3aee
	v_lshrrev_b32_e32 v31, 16, v4
	s_waitcnt vmcnt(0)
	s_barrier
	v_mul_f16_sdwa v38, v24, v37 dst_sel:DWORD dst_unused:UNUSED_PAD src0_sel:WORD_1 src1_sel:DWORD
	v_mul_f16_sdwa v39, v24, v5 dst_sel:DWORD dst_unused:UNUSED_PAD src0_sel:WORD_1 src1_sel:DWORD
	;; [unrolled: 1-line block ×4, first 2 shown]
	v_fma_f16 v5, v24, v5, v38
	v_fma_f16 v24, v24, v37, -v39
	v_fma_f16 v10, v25, v10, v40
	v_fma_f16 v25, v25, v36, -v41
	v_mul_f16_sdwa v36, v26, v35 dst_sel:DWORD dst_unused:UNUSED_PAD src0_sel:WORD_1 src1_sel:DWORD
	v_mul_f16_sdwa v37, v26, v12 dst_sel:DWORD dst_unused:UNUSED_PAD src0_sel:WORD_1 src1_sel:DWORD
	;; [unrolled: 1-line block ×8, first 2 shown]
	v_fma_f16 v12, v26, v12, v36
	v_fma_f16 v26, v26, v35, -v37
	v_fma_f16 v11, v27, v11, v38
	v_fma_f16 v27, v27, v34, -v39
	;; [unrolled: 2-line block ×3, first 2 shown]
	v_add_f16_e32 v33, v5, v10
	v_sub_f16_e32 v34, v24, v25
	v_add_f16_e32 v35, v8, v24
	v_add_f16_e32 v24, v24, v25
	v_fma_f16 v23, v29, v23, v42
	v_fma_f16 v29, v29, v32, -v43
	v_add_f16_e32 v32, v6, v5
	v_sub_f16_e32 v5, v5, v10
	v_fma_f16 v6, v33, -0.5, v6
	v_add_f16_e32 v25, v35, v25
	v_fma_f16 v8, v24, -0.5, v8
	v_add_f16_e32 v24, v7, v12
	v_sub_f16_e32 v33, v26, v27
	v_add_f16_e32 v35, v30, v26
	v_add_f16_e32 v26, v26, v27
	;; [unrolled: 1-line block ×4, first 2 shown]
	v_sub_f16_e32 v12, v12, v11
	v_add_f16_e32 v37, v13, v23
	v_fma_f16 v38, v34, s4, v6
	v_fma_f16 v6, v34, s5, v6
	;; [unrolled: 1-line block ×4, first 2 shown]
	v_add_f16_e32 v8, v24, v11
	v_fma_f16 v24, v26, -0.5, v30
	v_add_f16_e32 v36, v4, v13
	v_fma_f16 v7, v32, -0.5, v7
	v_fma_f16 v30, v12, s5, v24
	v_fma_f16 v12, v12, s4, v24
	v_fma_f16 v4, v37, -0.5, v4
	v_sub_f16_e32 v24, v28, v29
	v_add_f16_e32 v11, v35, v27
	v_fma_f16 v27, v33, s4, v7
	v_fma_f16 v7, v33, s5, v7
	;; [unrolled: 1-line block ×4, first 2 shown]
	v_add_f16_e32 v24, v31, v28
	v_add_f16_e32 v28, v28, v29
	;; [unrolled: 1-line block ×4, first 2 shown]
	v_fma_f16 v28, v28, -0.5, v31
	v_sub_f16_e32 v13, v13, v23
	v_pack_b32_f16 v5, v6, v5
	v_pack_b32_f16 v7, v7, v12
	v_fma_f16 v23, v13, s5, v28
	v_pack_b32_f16 v10, v10, v25
	v_pack_b32_f16 v25, v38, v34
	;; [unrolled: 1-line block ×3, first 2 shown]
	ds_write2_b32 v15, v5, v7 offset0:104 offset1:254
	v_pack_b32_f16 v5, v26, v24
	v_fma_f16 v13, v13, s4, v28
	ds_write2_b32 v14, v10, v6 offset1:150
	v_pack_b32_f16 v6, v27, v30
	ds_write2_b32 v1, v5, v25 offset0:44 offset1:244
	v_pack_b32_f16 v1, v32, v23
	ds_write2_b32 v22, v6, v1 offset0:10 offset1:160
	v_pack_b32_f16 v1, v4, v13
	ds_write_b32 v14, v1 offset:5200
	s_and_saveexec_b64 s[2:3], vcc
	s_cbranch_execz .LBB0_21
; %bb.20:
	v_not_b32_e32 v1, 49
	v_mov_b32_e32 v4, 0x1c2
	v_cndmask_b32_e32 v1, v1, v4, vcc
	v_add_lshl_u32 v8, v0, v1, 1
	v_lshlrev_b64 v[4:5], 2, v[8:9]
	v_mov_b32_e32 v1, s9
	v_add_co_u32_e32 v4, vcc, s8, v4
	v_addc_co_u32_e32 v5, vcc, v1, v5, vcc
	global_load_dwordx2 v[4:5], v[4:5], off offset:1980
	s_waitcnt vmcnt(0)
	v_mul_f16_sdwa v1, v20, v4 dst_sel:DWORD dst_unused:UNUSED_PAD src0_sel:DWORD src1_sel:WORD_1
	v_mul_f16_sdwa v6, v18, v5 dst_sel:DWORD dst_unused:UNUSED_PAD src0_sel:DWORD src1_sel:WORD_1
	;; [unrolled: 1-line block ×4, first 2 shown]
	v_fma_f16 v1, v21, v4, -v1
	v_fma_f16 v6, v19, v5, -v6
	v_fma_f16 v4, v20, v4, v7
	v_fma_f16 v5, v18, v5, v8
	v_add_f16_e32 v7, v1, v6
	v_add_f16_e32 v9, v17, v1
	;; [unrolled: 1-line block ×3, first 2 shown]
	v_sub_f16_e32 v8, v4, v5
	v_sub_f16_e32 v1, v1, v6
	v_add_f16_e32 v4, v16, v4
	v_fma_f16 v7, v7, -0.5, v17
	v_add_f16_e32 v6, v9, v6
	v_fma_f16 v9, v10, -0.5, v16
	v_add_f16_e32 v4, v4, v5
	v_fma_f16 v5, v8, s4, v7
	v_fma_f16 v7, v8, s5, v7
	;; [unrolled: 1-line block ×4, first 2 shown]
	v_pack_b32_f16 v4, v4, v6
	v_pack_b32_f16 v1, v1, v7
	ds_write_b32 v14, v4 offset:1800
	v_pack_b32_f16 v4, v8, v5
	ds_write_b32 v14, v1 offset:3800
	ds_write_b32 v14, v4 offset:5800
.LBB0_21:
	s_or_b64 exec, exec, s[2:3]
	s_waitcnt lgkmcnt(0)
	s_barrier
	s_and_saveexec_b64 s[2:3], s[0:1]
	s_cbranch_execz .LBB0_23
; %bb.22:
	v_lshl_add_u32 v6, v0, 2, 0
	v_mov_b32_e32 v1, 0
	ds_read2_b32 v[4:5], v6 offset1:150
	v_mov_b32_e32 v7, s13
	v_add_co_u32_e32 v8, vcc, s12, v2
	v_addc_co_u32_e32 v7, vcc, v7, v3, vcc
	v_lshlrev_b64 v[2:3], 2, v[0:1]
	v_add_co_u32_e32 v2, vcc, v8, v2
	v_addc_co_u32_e32 v3, vcc, v7, v3, vcc
	s_waitcnt lgkmcnt(0)
	global_store_dword v[2:3], v4, off
	v_add_u32_e32 v2, 0x96, v0
	v_mov_b32_e32 v3, v1
	v_lshlrev_b64 v[2:3], 2, v[2:3]
	v_add_u32_e32 v4, 0x400, v6
	v_add_co_u32_e32 v2, vcc, v8, v2
	v_addc_co_u32_e32 v3, vcc, v7, v3, vcc
	global_store_dword v[2:3], v5, off
	v_add_u32_e32 v2, 0x12c, v0
	v_mov_b32_e32 v3, v1
	ds_read2_b32 v[4:5], v4 offset0:44 offset1:194
	v_lshlrev_b64 v[2:3], 2, v[2:3]
	v_add_co_u32_e32 v2, vcc, v8, v2
	v_addc_co_u32_e32 v3, vcc, v7, v3, vcc
	s_waitcnt lgkmcnt(0)
	global_store_dword v[2:3], v4, off
	v_add_u32_e32 v2, 0x1c2, v0
	v_mov_b32_e32 v3, v1
	v_lshlrev_b64 v[2:3], 2, v[2:3]
	v_add_u32_e32 v4, 0x800, v6
	v_add_co_u32_e32 v2, vcc, v8, v2
	v_addc_co_u32_e32 v3, vcc, v7, v3, vcc
	global_store_dword v[2:3], v5, off
	v_add_u32_e32 v2, 0x258, v0
	v_mov_b32_e32 v3, v1
	ds_read2_b32 v[4:5], v4 offset0:88 offset1:238
	;; [unrolled: 15-line block ×3, first 2 shown]
	v_lshlrev_b64 v[2:3], 2, v[2:3]
	v_add_co_u32_e32 v2, vcc, v8, v2
	v_addc_co_u32_e32 v3, vcc, v7, v3, vcc
	s_waitcnt lgkmcnt(0)
	global_store_dword v[2:3], v4, off
	v_add_u32_e32 v2, 0x41a, v0
	v_mov_b32_e32 v3, v1
	v_lshlrev_b64 v[2:3], 2, v[2:3]
	v_add_u32_e32 v4, 0x1200, v6
	v_add_co_u32_e32 v2, vcc, v8, v2
	v_addc_co_u32_e32 v3, vcc, v7, v3, vcc
	global_store_dword v[2:3], v5, off
	v_add_u32_e32 v2, 0x4b0, v0
	v_mov_b32_e32 v3, v1
	v_lshlrev_b64 v[2:3], 2, v[2:3]
	ds_read2_b32 v[4:5], v4 offset0:48 offset1:198
	v_add_u32_e32 v0, 0x546, v0
	v_add_co_u32_e32 v2, vcc, v8, v2
	v_lshlrev_b64 v[0:1], 2, v[0:1]
	v_addc_co_u32_e32 v3, vcc, v7, v3, vcc
	v_add_co_u32_e32 v0, vcc, v8, v0
	v_addc_co_u32_e32 v1, vcc, v7, v1, vcc
	s_waitcnt lgkmcnt(0)
	global_store_dword v[2:3], v4, off
	global_store_dword v[0:1], v5, off
.LBB0_23:
	s_endpgm
	.section	.rodata,"a",@progbits
	.p2align	6, 0x0
	.amdhsa_kernel fft_rtc_back_len1500_factors_5_10_10_3_wgs_150_tpt_150_halfLds_half_ip_CI_unitstride_sbrr_C2R_dirReg
		.amdhsa_group_segment_fixed_size 0
		.amdhsa_private_segment_fixed_size 0
		.amdhsa_kernarg_size 88
		.amdhsa_user_sgpr_count 6
		.amdhsa_user_sgpr_private_segment_buffer 1
		.amdhsa_user_sgpr_dispatch_ptr 0
		.amdhsa_user_sgpr_queue_ptr 0
		.amdhsa_user_sgpr_kernarg_segment_ptr 1
		.amdhsa_user_sgpr_dispatch_id 0
		.amdhsa_user_sgpr_flat_scratch_init 0
		.amdhsa_user_sgpr_private_segment_size 0
		.amdhsa_uses_dynamic_stack 0
		.amdhsa_system_sgpr_private_segment_wavefront_offset 0
		.amdhsa_system_sgpr_workgroup_id_x 1
		.amdhsa_system_sgpr_workgroup_id_y 0
		.amdhsa_system_sgpr_workgroup_id_z 0
		.amdhsa_system_sgpr_workgroup_info 0
		.amdhsa_system_vgpr_workitem_id 0
		.amdhsa_next_free_vgpr 58
		.amdhsa_next_free_sgpr 22
		.amdhsa_reserve_vcc 1
		.amdhsa_reserve_flat_scratch 0
		.amdhsa_float_round_mode_32 0
		.amdhsa_float_round_mode_16_64 0
		.amdhsa_float_denorm_mode_32 3
		.amdhsa_float_denorm_mode_16_64 3
		.amdhsa_dx10_clamp 1
		.amdhsa_ieee_mode 1
		.amdhsa_fp16_overflow 0
		.amdhsa_exception_fp_ieee_invalid_op 0
		.amdhsa_exception_fp_denorm_src 0
		.amdhsa_exception_fp_ieee_div_zero 0
		.amdhsa_exception_fp_ieee_overflow 0
		.amdhsa_exception_fp_ieee_underflow 0
		.amdhsa_exception_fp_ieee_inexact 0
		.amdhsa_exception_int_div_zero 0
	.end_amdhsa_kernel
	.text
.Lfunc_end0:
	.size	fft_rtc_back_len1500_factors_5_10_10_3_wgs_150_tpt_150_halfLds_half_ip_CI_unitstride_sbrr_C2R_dirReg, .Lfunc_end0-fft_rtc_back_len1500_factors_5_10_10_3_wgs_150_tpt_150_halfLds_half_ip_CI_unitstride_sbrr_C2R_dirReg
                                        ; -- End function
	.section	.AMDGPU.csdata,"",@progbits
; Kernel info:
; codeLenInByte = 7788
; NumSgprs: 26
; NumVgprs: 58
; ScratchSize: 0
; MemoryBound: 0
; FloatMode: 240
; IeeeMode: 1
; LDSByteSize: 0 bytes/workgroup (compile time only)
; SGPRBlocks: 3
; VGPRBlocks: 14
; NumSGPRsForWavesPerEU: 26
; NumVGPRsForWavesPerEU: 58
; Occupancy: 4
; WaveLimiterHint : 1
; COMPUTE_PGM_RSRC2:SCRATCH_EN: 0
; COMPUTE_PGM_RSRC2:USER_SGPR: 6
; COMPUTE_PGM_RSRC2:TRAP_HANDLER: 0
; COMPUTE_PGM_RSRC2:TGID_X_EN: 1
; COMPUTE_PGM_RSRC2:TGID_Y_EN: 0
; COMPUTE_PGM_RSRC2:TGID_Z_EN: 0
; COMPUTE_PGM_RSRC2:TIDIG_COMP_CNT: 0
	.type	__hip_cuid_84e18a893b1161ef,@object ; @__hip_cuid_84e18a893b1161ef
	.section	.bss,"aw",@nobits
	.globl	__hip_cuid_84e18a893b1161ef
__hip_cuid_84e18a893b1161ef:
	.byte	0                               ; 0x0
	.size	__hip_cuid_84e18a893b1161ef, 1

	.ident	"AMD clang version 19.0.0git (https://github.com/RadeonOpenCompute/llvm-project roc-6.4.0 25133 c7fe45cf4b819c5991fe208aaa96edf142730f1d)"
	.section	".note.GNU-stack","",@progbits
	.addrsig
	.addrsig_sym __hip_cuid_84e18a893b1161ef
	.amdgpu_metadata
---
amdhsa.kernels:
  - .args:
      - .actual_access:  read_only
        .address_space:  global
        .offset:         0
        .size:           8
        .value_kind:     global_buffer
      - .offset:         8
        .size:           8
        .value_kind:     by_value
      - .actual_access:  read_only
        .address_space:  global
        .offset:         16
        .size:           8
        .value_kind:     global_buffer
      - .actual_access:  read_only
        .address_space:  global
        .offset:         24
        .size:           8
        .value_kind:     global_buffer
      - .offset:         32
        .size:           8
        .value_kind:     by_value
      - .actual_access:  read_only
        .address_space:  global
        .offset:         40
        .size:           8
        .value_kind:     global_buffer
      - .actual_access:  read_only
        .address_space:  global
        .offset:         48
        .size:           8
        .value_kind:     global_buffer
      - .offset:         56
        .size:           4
        .value_kind:     by_value
      - .actual_access:  read_only
        .address_space:  global
        .offset:         64
        .size:           8
        .value_kind:     global_buffer
      - .actual_access:  read_only
        .address_space:  global
        .offset:         72
        .size:           8
        .value_kind:     global_buffer
      - .address_space:  global
        .offset:         80
        .size:           8
        .value_kind:     global_buffer
    .group_segment_fixed_size: 0
    .kernarg_segment_align: 8
    .kernarg_segment_size: 88
    .language:       OpenCL C
    .language_version:
      - 2
      - 0
    .max_flat_workgroup_size: 150
    .name:           fft_rtc_back_len1500_factors_5_10_10_3_wgs_150_tpt_150_halfLds_half_ip_CI_unitstride_sbrr_C2R_dirReg
    .private_segment_fixed_size: 0
    .sgpr_count:     26
    .sgpr_spill_count: 0
    .symbol:         fft_rtc_back_len1500_factors_5_10_10_3_wgs_150_tpt_150_halfLds_half_ip_CI_unitstride_sbrr_C2R_dirReg.kd
    .uniform_work_group_size: 1
    .uses_dynamic_stack: false
    .vgpr_count:     58
    .vgpr_spill_count: 0
    .wavefront_size: 64
amdhsa.target:   amdgcn-amd-amdhsa--gfx906
amdhsa.version:
  - 1
  - 2
...

	.end_amdgpu_metadata
